;; amdgpu-corpus repo=ROCm/rocFFT kind=compiled arch=gfx1201 opt=O3
	.text
	.amdgcn_target "amdgcn-amd-amdhsa--gfx1201"
	.amdhsa_code_object_version 6
	.protected	fft_rtc_back_len120_factors_6_10_2_wgs_60_tpt_12_halfLds_half_op_CI_CI_unitstride_sbrr_C2R_dirReg ; -- Begin function fft_rtc_back_len120_factors_6_10_2_wgs_60_tpt_12_halfLds_half_op_CI_CI_unitstride_sbrr_C2R_dirReg
	.globl	fft_rtc_back_len120_factors_6_10_2_wgs_60_tpt_12_halfLds_half_op_CI_CI_unitstride_sbrr_C2R_dirReg
	.p2align	8
	.type	fft_rtc_back_len120_factors_6_10_2_wgs_60_tpt_12_halfLds_half_op_CI_CI_unitstride_sbrr_C2R_dirReg,@function
fft_rtc_back_len120_factors_6_10_2_wgs_60_tpt_12_halfLds_half_op_CI_CI_unitstride_sbrr_C2R_dirReg: ; @fft_rtc_back_len120_factors_6_10_2_wgs_60_tpt_12_halfLds_half_op_CI_CI_unitstride_sbrr_C2R_dirReg
; %bb.0:
	s_load_b128 s[8:11], s[0:1], 0x0
	v_mul_u32_u24_e32 v1, 0x1556, v0
	s_clause 0x1
	s_load_b128 s[4:7], s[0:1], 0x58
	s_load_b128 s[12:15], s[0:1], 0x18
	v_mov_b32_e32 v10, 0
	v_mov_b32_e32 v6, 0
	;; [unrolled: 1-line block ×3, first 2 shown]
	v_lshrrev_b32_e32 v1, 16, v1
	s_delay_alu instid0(VALU_DEP_1) | instskip(SKIP_1) | instid1(VALU_DEP_4)
	v_mad_co_u64_u32 v[8:9], null, ttmp9, 5, v[1:2]
	v_mov_b32_e32 v9, v10
	v_dual_mov_b32 v1, v6 :: v_dual_mov_b32 v2, v7
	s_delay_alu instid0(VALU_DEP_2) | instskip(SKIP_2) | instid1(VALU_DEP_1)
	v_dual_mov_b32 v3, v8 :: v_dual_mov_b32 v4, v9
	s_wait_kmcnt 0x0
	v_cmp_lt_u64_e64 s2, s[10:11], 2
	s_and_b32 vcc_lo, exec_lo, s2
	s_cbranch_vccnz .LBB0_8
; %bb.1:
	s_load_b64 s[2:3], s[0:1], 0x10
	v_dual_mov_b32 v6, 0 :: v_dual_mov_b32 v13, v9
	v_dual_mov_b32 v7, 0 :: v_dual_mov_b32 v12, v8
	s_delay_alu instid0(VALU_DEP_2) | instskip(SKIP_2) | instid1(VALU_DEP_2)
	v_mov_b32_e32 v1, v6
	s_add_nc_u64 s[16:17], s[14:15], 8
	s_add_nc_u64 s[18:19], s[12:13], 8
	v_mov_b32_e32 v2, v7
	s_mov_b64 s[20:21], 1
	s_wait_kmcnt 0x0
	s_add_nc_u64 s[22:23], s[2:3], 8
	s_mov_b32 s3, 0
.LBB0_2:                                ; =>This Inner Loop Header: Depth=1
	s_load_b64 s[24:25], s[22:23], 0x0
                                        ; implicit-def: $vgpr3_vgpr4
	s_mov_b32 s2, exec_lo
	s_wait_kmcnt 0x0
	v_or_b32_e32 v11, s25, v13
	s_delay_alu instid0(VALU_DEP_1)
	v_cmpx_ne_u64_e32 0, v[10:11]
	s_wait_alu 0xfffe
	s_xor_b32 s26, exec_lo, s2
	s_cbranch_execz .LBB0_4
; %bb.3:                                ;   in Loop: Header=BB0_2 Depth=1
	s_cvt_f32_u32 s2, s24
	s_cvt_f32_u32 s27, s25
	s_sub_nc_u64 s[30:31], 0, s[24:25]
	s_wait_alu 0xfffe
	s_delay_alu instid0(SALU_CYCLE_1) | instskip(SKIP_1) | instid1(SALU_CYCLE_2)
	s_fmamk_f32 s2, s27, 0x4f800000, s2
	s_wait_alu 0xfffe
	v_s_rcp_f32 s2, s2
	s_delay_alu instid0(TRANS32_DEP_1) | instskip(SKIP_1) | instid1(SALU_CYCLE_2)
	s_mul_f32 s2, s2, 0x5f7ffffc
	s_wait_alu 0xfffe
	s_mul_f32 s27, s2, 0x2f800000
	s_wait_alu 0xfffe
	s_delay_alu instid0(SALU_CYCLE_2) | instskip(SKIP_1) | instid1(SALU_CYCLE_2)
	s_trunc_f32 s27, s27
	s_wait_alu 0xfffe
	s_fmamk_f32 s2, s27, 0xcf800000, s2
	s_cvt_u32_f32 s29, s27
	s_wait_alu 0xfffe
	s_delay_alu instid0(SALU_CYCLE_1) | instskip(SKIP_1) | instid1(SALU_CYCLE_2)
	s_cvt_u32_f32 s28, s2
	s_wait_alu 0xfffe
	s_mul_u64 s[34:35], s[30:31], s[28:29]
	s_wait_alu 0xfffe
	s_mul_hi_u32 s37, s28, s35
	s_mul_i32 s36, s28, s35
	s_mul_hi_u32 s2, s28, s34
	s_mul_i32 s33, s29, s34
	s_wait_alu 0xfffe
	s_add_nc_u64 s[36:37], s[2:3], s[36:37]
	s_mul_hi_u32 s27, s29, s34
	s_mul_hi_u32 s38, s29, s35
	s_add_co_u32 s2, s36, s33
	s_wait_alu 0xfffe
	s_add_co_ci_u32 s2, s37, s27
	s_mul_i32 s34, s29, s35
	s_add_co_ci_u32 s35, s38, 0
	s_wait_alu 0xfffe
	s_add_nc_u64 s[34:35], s[2:3], s[34:35]
	s_wait_alu 0xfffe
	v_add_co_u32 v3, s2, s28, s34
	s_delay_alu instid0(VALU_DEP_1) | instskip(SKIP_1) | instid1(VALU_DEP_1)
	s_cmp_lg_u32 s2, 0
	s_add_co_ci_u32 s29, s29, s35
	v_readfirstlane_b32 s28, v3
	s_wait_alu 0xfffe
	s_delay_alu instid0(VALU_DEP_1)
	s_mul_u64 s[30:31], s[30:31], s[28:29]
	s_wait_alu 0xfffe
	s_mul_hi_u32 s35, s28, s31
	s_mul_i32 s34, s28, s31
	s_mul_hi_u32 s2, s28, s30
	s_mul_i32 s33, s29, s30
	s_wait_alu 0xfffe
	s_add_nc_u64 s[34:35], s[2:3], s[34:35]
	s_mul_hi_u32 s27, s29, s30
	s_mul_hi_u32 s28, s29, s31
	s_wait_alu 0xfffe
	s_add_co_u32 s2, s34, s33
	s_add_co_ci_u32 s2, s35, s27
	s_mul_i32 s30, s29, s31
	s_add_co_ci_u32 s31, s28, 0
	s_wait_alu 0xfffe
	s_add_nc_u64 s[30:31], s[2:3], s[30:31]
	s_wait_alu 0xfffe
	v_add_co_u32 v5, s2, v3, s30
	s_delay_alu instid0(VALU_DEP_1) | instskip(SKIP_1) | instid1(VALU_DEP_1)
	s_cmp_lg_u32 s2, 0
	s_add_co_ci_u32 s2, s29, s31
	v_mul_hi_u32 v9, v12, v5
	s_wait_alu 0xfffe
	v_mad_co_u64_u32 v[3:4], null, v12, s2, 0
	v_mad_co_u64_u32 v[14:15], null, v13, v5, 0
	;; [unrolled: 1-line block ×3, first 2 shown]
	s_delay_alu instid0(VALU_DEP_3) | instskip(SKIP_1) | instid1(VALU_DEP_4)
	v_add_co_u32 v3, vcc_lo, v9, v3
	s_wait_alu 0xfffd
	v_add_co_ci_u32_e32 v4, vcc_lo, 0, v4, vcc_lo
	s_delay_alu instid0(VALU_DEP_2) | instskip(SKIP_1) | instid1(VALU_DEP_2)
	v_add_co_u32 v3, vcc_lo, v3, v14
	s_wait_alu 0xfffd
	v_add_co_ci_u32_e32 v3, vcc_lo, v4, v15, vcc_lo
	s_wait_alu 0xfffd
	v_add_co_ci_u32_e32 v4, vcc_lo, 0, v17, vcc_lo
	s_delay_alu instid0(VALU_DEP_2) | instskip(SKIP_1) | instid1(VALU_DEP_2)
	v_add_co_u32 v5, vcc_lo, v3, v16
	s_wait_alu 0xfffd
	v_add_co_ci_u32_e32 v9, vcc_lo, 0, v4, vcc_lo
	s_delay_alu instid0(VALU_DEP_2) | instskip(SKIP_1) | instid1(VALU_DEP_3)
	v_mul_lo_u32 v11, s25, v5
	v_mad_co_u64_u32 v[3:4], null, s24, v5, 0
	v_mul_lo_u32 v14, s24, v9
	s_delay_alu instid0(VALU_DEP_2) | instskip(NEXT) | instid1(VALU_DEP_2)
	v_sub_co_u32 v3, vcc_lo, v12, v3
	v_add3_u32 v4, v4, v14, v11
	s_delay_alu instid0(VALU_DEP_1) | instskip(SKIP_1) | instid1(VALU_DEP_1)
	v_sub_nc_u32_e32 v11, v13, v4
	s_wait_alu 0xfffd
	v_subrev_co_ci_u32_e64 v11, s2, s25, v11, vcc_lo
	v_add_co_u32 v14, s2, v5, 2
	s_wait_alu 0xf1ff
	v_add_co_ci_u32_e64 v15, s2, 0, v9, s2
	v_sub_co_u32 v16, s2, v3, s24
	v_sub_co_ci_u32_e32 v4, vcc_lo, v13, v4, vcc_lo
	s_wait_alu 0xf1ff
	v_subrev_co_ci_u32_e64 v11, s2, 0, v11, s2
	s_delay_alu instid0(VALU_DEP_3) | instskip(NEXT) | instid1(VALU_DEP_3)
	v_cmp_le_u32_e32 vcc_lo, s24, v16
	v_cmp_eq_u32_e64 s2, s25, v4
	s_wait_alu 0xfffd
	v_cndmask_b32_e64 v16, 0, -1, vcc_lo
	v_cmp_le_u32_e32 vcc_lo, s25, v11
	s_wait_alu 0xfffd
	v_cndmask_b32_e64 v17, 0, -1, vcc_lo
	v_cmp_le_u32_e32 vcc_lo, s24, v3
	;; [unrolled: 3-line block ×3, first 2 shown]
	s_wait_alu 0xfffd
	v_cndmask_b32_e64 v18, 0, -1, vcc_lo
	v_cmp_eq_u32_e32 vcc_lo, s25, v11
	s_wait_alu 0xf1ff
	s_delay_alu instid0(VALU_DEP_2)
	v_cndmask_b32_e64 v3, v18, v3, s2
	s_wait_alu 0xfffd
	v_cndmask_b32_e32 v11, v17, v16, vcc_lo
	v_add_co_u32 v16, vcc_lo, v5, 1
	s_wait_alu 0xfffd
	v_add_co_ci_u32_e32 v17, vcc_lo, 0, v9, vcc_lo
	s_delay_alu instid0(VALU_DEP_3) | instskip(SKIP_1) | instid1(VALU_DEP_2)
	v_cmp_ne_u32_e32 vcc_lo, 0, v11
	s_wait_alu 0xfffd
	v_dual_cndmask_b32 v4, v17, v15 :: v_dual_cndmask_b32 v11, v16, v14
	v_cmp_ne_u32_e32 vcc_lo, 0, v3
	s_wait_alu 0xfffd
	s_delay_alu instid0(VALU_DEP_2) | instskip(NEXT) | instid1(VALU_DEP_3)
	v_cndmask_b32_e32 v4, v9, v4, vcc_lo
	v_cndmask_b32_e32 v3, v5, v11, vcc_lo
.LBB0_4:                                ;   in Loop: Header=BB0_2 Depth=1
	s_wait_alu 0xfffe
	s_and_not1_saveexec_b32 s2, s26
	s_cbranch_execz .LBB0_6
; %bb.5:                                ;   in Loop: Header=BB0_2 Depth=1
	v_cvt_f32_u32_e32 v3, s24
	s_sub_co_i32 s26, 0, s24
	s_delay_alu instid0(VALU_DEP_1) | instskip(NEXT) | instid1(TRANS32_DEP_1)
	v_rcp_iflag_f32_e32 v3, v3
	v_mul_f32_e32 v3, 0x4f7ffffe, v3
	s_delay_alu instid0(VALU_DEP_1) | instskip(SKIP_1) | instid1(VALU_DEP_1)
	v_cvt_u32_f32_e32 v3, v3
	s_wait_alu 0xfffe
	v_mul_lo_u32 v4, s26, v3
	s_delay_alu instid0(VALU_DEP_1) | instskip(NEXT) | instid1(VALU_DEP_1)
	v_mul_hi_u32 v4, v3, v4
	v_add_nc_u32_e32 v3, v3, v4
	s_delay_alu instid0(VALU_DEP_1) | instskip(NEXT) | instid1(VALU_DEP_1)
	v_mul_hi_u32 v3, v12, v3
	v_mul_lo_u32 v4, v3, s24
	v_add_nc_u32_e32 v5, 1, v3
	s_delay_alu instid0(VALU_DEP_2) | instskip(NEXT) | instid1(VALU_DEP_1)
	v_sub_nc_u32_e32 v4, v12, v4
	v_subrev_nc_u32_e32 v9, s24, v4
	v_cmp_le_u32_e32 vcc_lo, s24, v4
	s_wait_alu 0xfffd
	s_delay_alu instid0(VALU_DEP_2) | instskip(SKIP_1) | instid1(VALU_DEP_2)
	v_cndmask_b32_e32 v4, v4, v9, vcc_lo
	v_cndmask_b32_e32 v3, v3, v5, vcc_lo
	v_cmp_le_u32_e32 vcc_lo, s24, v4
	s_delay_alu instid0(VALU_DEP_2) | instskip(SKIP_1) | instid1(VALU_DEP_1)
	v_dual_mov_b32 v4, v10 :: v_dual_add_nc_u32 v5, 1, v3
	s_wait_alu 0xfffd
	v_cndmask_b32_e32 v3, v3, v5, vcc_lo
.LBB0_6:                                ;   in Loop: Header=BB0_2 Depth=1
	s_wait_alu 0xfffe
	s_or_b32 exec_lo, exec_lo, s2
	v_mul_lo_u32 v5, v4, s24
	s_delay_alu instid0(VALU_DEP_2)
	v_mul_lo_u32 v9, v3, s25
	s_load_b64 s[26:27], s[18:19], 0x0
	v_mad_co_u64_u32 v[14:15], null, v3, s24, 0
	s_load_b64 s[24:25], s[16:17], 0x0
	s_add_nc_u64 s[20:21], s[20:21], 1
	s_add_nc_u64 s[16:17], s[16:17], 8
	s_wait_alu 0xfffe
	v_cmp_ge_u64_e64 s2, s[20:21], s[10:11]
	s_add_nc_u64 s[18:19], s[18:19], 8
	s_add_nc_u64 s[22:23], s[22:23], 8
	v_add3_u32 v5, v15, v9, v5
	v_sub_co_u32 v9, vcc_lo, v12, v14
	s_wait_alu 0xfffd
	s_delay_alu instid0(VALU_DEP_2) | instskip(SKIP_2) | instid1(VALU_DEP_1)
	v_sub_co_ci_u32_e32 v5, vcc_lo, v13, v5, vcc_lo
	s_and_b32 vcc_lo, exec_lo, s2
	s_wait_kmcnt 0x0
	v_mul_lo_u32 v11, s26, v5
	v_mul_lo_u32 v12, s27, v9
	v_mad_co_u64_u32 v[6:7], null, s26, v9, v[6:7]
	v_mul_lo_u32 v5, s24, v5
	v_mul_lo_u32 v13, s25, v9
	v_mad_co_u64_u32 v[1:2], null, s24, v9, v[1:2]
	s_delay_alu instid0(VALU_DEP_4) | instskip(NEXT) | instid1(VALU_DEP_2)
	v_add3_u32 v7, v12, v7, v11
	v_add3_u32 v2, v13, v2, v5
	s_wait_alu 0xfffe
	s_cbranch_vccnz .LBB0_8
; %bb.7:                                ;   in Loop: Header=BB0_2 Depth=1
	v_dual_mov_b32 v13, v4 :: v_dual_mov_b32 v12, v3
	s_branch .LBB0_2
.LBB0_8:
	s_load_b64 s[0:1], s[0:1], 0x28
	v_mul_hi_u32 v5, 0xcccccccd, v8
	v_mul_hi_u32 v10, 0x15555556, v0
	s_lshl_b64 s[10:11], s[10:11], 3
	s_wait_alu 0xfffe
	s_add_nc_u64 s[2:3], s[14:15], s[10:11]
	s_delay_alu instid0(VALU_DEP_2) | instskip(NEXT) | instid1(VALU_DEP_1)
	v_lshrrev_b32_e32 v5, 2, v5
	v_lshl_add_u32 v5, v5, 2, v5
	s_delay_alu instid0(VALU_DEP_1) | instskip(SKIP_3) | instid1(VALU_DEP_1)
	v_sub_nc_u32_e32 v11, v8, v5
	s_wait_kmcnt 0x0
	v_cmp_gt_u64_e32 vcc_lo, s[0:1], v[3:4]
	v_cmp_le_u64_e64 s0, s[0:1], v[3:4]
                                        ; implicit-def: $vgpr5
                                        ; implicit-def: $vgpr8_vgpr9
	s_and_saveexec_b32 s1, s0
	s_wait_alu 0xfffe
	s_xor_b32 s0, exec_lo, s1
; %bb.9:
	v_mul_u32_u24_e32 v5, 12, v10
	v_mov_b32_e32 v6, 0
                                        ; implicit-def: $vgpr10
	s_delay_alu instid0(VALU_DEP_2) | instskip(NEXT) | instid1(VALU_DEP_2)
	v_sub_nc_u32_e32 v5, v0, v5
	v_mov_b32_e32 v9, v6
                                        ; implicit-def: $vgpr0
	s_delay_alu instid0(VALU_DEP_2)
	v_mov_b32_e32 v8, v5
                                        ; implicit-def: $vgpr6_vgpr7
; %bb.10:
	s_wait_alu 0xfffe
	s_or_saveexec_b32 s1, s0
	s_load_b64 s[2:3], s[2:3], 0x0
	v_mul_u32_u24_e32 v24, 0x79, v11
	s_delay_alu instid0(VALU_DEP_1)
	v_lshlrev_b32_e32 v22, 2, v24
	s_xor_b32 exec_lo, exec_lo, s1
	s_cbranch_execz .LBB0_14
; %bb.11:
	s_add_nc_u64 s[10:11], s[12:13], s[10:11]
	v_lshlrev_b64_e32 v[6:7], 2, v[6:7]
	s_load_b64 s[10:11], s[10:11], 0x0
	s_wait_kmcnt 0x0
	v_mul_lo_u32 v5, s11, v3
	v_mul_lo_u32 v11, s10, v4
	v_mad_co_u64_u32 v[8:9], null, s10, v3, 0
	s_delay_alu instid0(VALU_DEP_1) | instskip(SKIP_1) | instid1(VALU_DEP_2)
	v_add3_u32 v9, v9, v11, v5
	v_mul_u32_u24_e32 v5, 12, v10
	v_lshlrev_b64_e32 v[8:9], 2, v[8:9]
	s_delay_alu instid0(VALU_DEP_2) | instskip(NEXT) | instid1(VALU_DEP_2)
	v_sub_nc_u32_e32 v5, v0, v5
	v_add_co_u32 v0, s0, s4, v8
	s_wait_alu 0xf1ff
	s_delay_alu instid0(VALU_DEP_3) | instskip(NEXT) | instid1(VALU_DEP_3)
	v_add_co_ci_u32_e64 v8, s0, s5, v9, s0
	v_lshlrev_b32_e32 v9, 2, v5
	s_delay_alu instid0(VALU_DEP_3) | instskip(SKIP_1) | instid1(VALU_DEP_3)
	v_add_co_u32 v10, s0, v0, v6
	s_wait_alu 0xf1ff
	v_add_co_ci_u32_e64 v11, s0, v8, v7, s0
	s_mov_b32 s4, exec_lo
	s_delay_alu instid0(VALU_DEP_2) | instskip(SKIP_1) | instid1(VALU_DEP_2)
	v_add_co_u32 v6, s0, v10, v9
	s_wait_alu 0xf1ff
	v_add_co_ci_u32_e64 v7, s0, 0, v11, s0
	s_clause 0x9
	global_load_b32 v12, v[6:7], off
	global_load_b32 v13, v[6:7], off offset:48
	global_load_b32 v14, v[6:7], off offset:96
	;; [unrolled: 1-line block ×9, first 2 shown]
	v_mov_b32_e32 v6, 0
	v_add3_u32 v0, 0, v22, v9
	s_wait_loadcnt 0x8
	ds_store_2addr_b32 v0, v12, v13 offset1:12
	s_wait_loadcnt 0x6
	ds_store_2addr_b32 v0, v14, v15 offset0:24 offset1:36
	s_wait_loadcnt 0x4
	ds_store_2addr_b32 v0, v16, v17 offset0:48 offset1:60
	s_wait_loadcnt 0x2
	ds_store_2addr_b32 v0, v18, v19 offset0:72 offset1:84
	s_wait_loadcnt 0x0
	ds_store_2addr_b32 v0, v20, v7 offset0:96 offset1:108
	v_dual_mov_b32 v9, v6 :: v_dual_mov_b32 v8, v5
	v_cmpx_eq_u32_e32 11, v5
	s_cbranch_execz .LBB0_13
; %bb.12:
	global_load_b32 v6, v[10:11], off offset:480
	v_dual_mov_b32 v8, 11 :: v_dual_mov_b32 v5, 11
	v_mov_b32_e32 v9, 0
	s_wait_loadcnt 0x0
	ds_store_b32 v0, v6 offset:436
.LBB0_13:
	s_wait_alu 0xfffe
	s_or_b32 exec_lo, exec_lo, s4
.LBB0_14:
	s_delay_alu instid0(SALU_CYCLE_1)
	s_or_b32 exec_lo, exec_lo, s1
	v_lshl_add_u32 v0, v24, 2, 0
	v_lshlrev_b32_e32 v6, 2, v5
	global_wb scope:SCOPE_SE
	s_wait_dscnt 0x0
	s_wait_kmcnt 0x0
	s_barrier_signal -1
	s_barrier_wait -1
	global_inv scope:SCOPE_SE
	v_add_nc_u32_e32 v21, v0, v6
	v_sub_nc_u32_e32 v11, v0, v6
	v_lshlrev_b64_e32 v[7:8], 2, v[8:9]
	s_mov_b32 s1, exec_lo
	ds_load_u16 v6, v21
	ds_load_u16 v10, v11 offset:480
	s_wait_dscnt 0x0
	v_add_f16_e32 v12, v10, v6
	v_sub_f16_e32 v13, v6, v10
	v_cmpx_ne_u32_e32 0, v5
	s_wait_alu 0xfffe
	s_xor_b32 s1, exec_lo, s1
	s_cbranch_execz .LBB0_16
; %bb.15:
	v_add_co_u32 v12, s0, s8, v7
	s_wait_alu 0xf1ff
	v_add_co_ci_u32_e64 v13, s0, s9, v8, s0
	v_add_f16_e32 v14, v10, v6
	v_sub_f16_e32 v6, v6, v10
	global_load_b32 v9, v[12:13], off offset:456
	ds_load_u16 v12, v11 offset:482
	ds_load_u16 v13, v21 offset:2
	s_wait_dscnt 0x0
	v_add_f16_e32 v10, v12, v13
	v_sub_f16_e32 v12, v13, v12
	s_wait_loadcnt 0x0
	v_lshrrev_b32_e32 v15, 16, v9
	s_delay_alu instid0(VALU_DEP_1) | instskip(NEXT) | instid1(VALU_DEP_3)
	v_fma_f16 v16, -v6, v15, v14
	v_fma_f16 v17, v10, v15, -v12
	v_fma_f16 v14, v6, v15, v14
	v_fma_f16 v13, v10, v15, v12
	s_delay_alu instid0(VALU_DEP_4) | instskip(NEXT) | instid1(VALU_DEP_4)
	v_fmac_f16_e32 v16, v9, v10
	v_fmac_f16_e32 v17, v6, v9
	s_delay_alu instid0(VALU_DEP_4) | instskip(NEXT) | instid1(VALU_DEP_4)
	v_fma_f16 v12, -v9, v10, v14
	v_fmac_f16_e32 v13, v6, v9
	s_delay_alu instid0(VALU_DEP_3)
	v_pack_b32_f16 v10, v16, v17
	ds_store_b32 v11, v10 offset:480
.LBB0_16:
	s_wait_alu 0xfffe
	s_and_not1_saveexec_b32 s0, s1
	s_cbranch_execz .LBB0_18
; %bb.17:
	ds_load_b32 v6, v0 offset:240
	s_wait_dscnt 0x0
	v_pk_mul_f16 v6, 0xc0004000, v6
	ds_store_b32 v0, v6 offset:240
.LBB0_18:
	s_wait_alu 0xfffe
	s_or_b32 exec_lo, exec_lo, s0
	v_mov_b32_e32 v6, 0
	s_add_nc_u64 s[0:1], s[8:9], 0x1c8
	v_perm_b32 v12, v13, v12, 0x5040100
	s_delay_alu instid0(VALU_DEP_2) | instskip(SKIP_1) | instid1(VALU_DEP_1)
	v_lshlrev_b64_e32 v[9:10], 2, v[5:6]
	s_wait_alu 0xfffe
	v_add_co_u32 v14, s0, s0, v9
	s_wait_alu 0xf1ff
	s_delay_alu instid0(VALU_DEP_2)
	v_add_co_ci_u32_e64 v15, s0, s1, v10, s0
	v_cmp_gt_u32_e64 s0, 8, v5
	s_clause 0x3
	global_load_b32 v16, v[14:15], off offset:48
	global_load_b32 v17, v[14:15], off offset:96
	;; [unrolled: 1-line block ×4, first 2 shown]
	ds_store_b32 v21, v12
	ds_load_b32 v12, v21 offset:48
	ds_load_b32 v13, v11 offset:432
	s_wait_dscnt 0x1
	v_lshrrev_b32_e32 v15, 16, v12
	s_wait_dscnt 0x0
	v_lshrrev_b32_e32 v19, 16, v13
	v_add_f16_e32 v20, v12, v13
	v_sub_f16_e32 v12, v12, v13
	s_delay_alu instid0(VALU_DEP_3) | instskip(SKIP_3) | instid1(VALU_DEP_1)
	v_add_f16_e32 v13, v19, v15
	v_sub_f16_e32 v15, v15, v19
	s_wait_loadcnt 0x3
	v_lshrrev_b32_e32 v23, 16, v16
	v_fma_f16 v19, v12, v23, v20
	s_delay_alu instid0(VALU_DEP_3) | instskip(SKIP_2) | instid1(VALU_DEP_4)
	v_fma_f16 v25, v13, v23, v15
	v_fma_f16 v20, -v12, v23, v20
	v_fma_f16 v15, v13, v23, -v15
	v_fma_f16 v19, -v16, v13, v19
	s_delay_alu instid0(VALU_DEP_4) | instskip(NEXT) | instid1(VALU_DEP_4)
	v_fmac_f16_e32 v25, v12, v16
	v_fmac_f16_e32 v20, v16, v13
	s_delay_alu instid0(VALU_DEP_4) | instskip(NEXT) | instid1(VALU_DEP_3)
	v_fmac_f16_e32 v15, v12, v16
	v_pack_b32_f16 v12, v19, v25
	s_wait_loadcnt 0x2
	v_lshrrev_b32_e32 v19, 16, v17
	s_delay_alu instid0(VALU_DEP_3)
	v_pack_b32_f16 v13, v20, v15
	v_lshl_add_u32 v25, v5, 2, 0
	ds_store_b32 v21, v12 offset:48
	ds_store_b32 v11, v13 offset:432
	ds_load_b32 v12, v21 offset:96
	ds_load_b32 v13, v11 offset:384
	s_wait_dscnt 0x1
	v_lshrrev_b32_e32 v15, 16, v12
	s_wait_dscnt 0x0
	v_lshrrev_b32_e32 v16, 16, v13
	v_add_f16_e32 v20, v12, v13
	v_sub_f16_e32 v12, v12, v13
	s_delay_alu instid0(VALU_DEP_3) | instskip(SKIP_1) | instid1(VALU_DEP_3)
	v_add_f16_e32 v13, v16, v15
	v_sub_f16_e32 v15, v15, v16
	v_fma_f16 v16, v12, v19, v20
	v_fma_f16 v20, -v12, v19, v20
	s_delay_alu instid0(VALU_DEP_3) | instskip(SKIP_1) | instid1(VALU_DEP_4)
	v_fma_f16 v23, v13, v19, v15
	v_fma_f16 v15, v13, v19, -v15
	v_fma_f16 v16, -v17, v13, v16
	s_delay_alu instid0(VALU_DEP_4) | instskip(NEXT) | instid1(VALU_DEP_4)
	v_fmac_f16_e32 v20, v17, v13
	v_fmac_f16_e32 v23, v12, v17
	s_delay_alu instid0(VALU_DEP_4) | instskip(SKIP_2) | instid1(VALU_DEP_3)
	v_fmac_f16_e32 v15, v12, v17
	s_wait_loadcnt 0x1
	v_lshrrev_b32_e32 v17, 16, v18
	v_pack_b32_f16 v12, v16, v23
	v_add_nc_u32_e32 v23, v25, v22
	v_pack_b32_f16 v13, v20, v15
	ds_store_b32 v21, v12 offset:96
	ds_store_b32 v11, v13 offset:384
	ds_load_b32 v12, v21 offset:144
	ds_load_b32 v13, v11 offset:336
	v_mad_u32_u24 v25, v5, 20, v25
	s_delay_alu instid0(VALU_DEP_1)
	v_add_nc_u32_e32 v28, v25, v22
	s_wait_dscnt 0x1
	v_lshrrev_b32_e32 v15, 16, v12
	s_wait_dscnt 0x0
	v_lshrrev_b32_e32 v16, 16, v13
	v_add_f16_e32 v19, v12, v13
	v_sub_f16_e32 v12, v12, v13
	s_delay_alu instid0(VALU_DEP_3) | instskip(SKIP_1) | instid1(VALU_DEP_3)
	v_add_f16_e32 v13, v16, v15
	v_sub_f16_e32 v15, v15, v16
	v_fma_f16 v16, v12, v17, v19
	v_fma_f16 v19, -v12, v17, v19
	s_delay_alu instid0(VALU_DEP_3) | instskip(SKIP_1) | instid1(VALU_DEP_4)
	v_fma_f16 v20, v13, v17, v15
	v_fma_f16 v15, v13, v17, -v15
	v_fma_f16 v16, -v18, v13, v16
	s_delay_alu instid0(VALU_DEP_4) | instskip(SKIP_4) | instid1(VALU_DEP_2)
	v_fmac_f16_e32 v19, v18, v13
	s_wait_loadcnt 0x0
	v_lshrrev_b32_e32 v17, 16, v14
	v_fmac_f16_e32 v20, v12, v18
	v_fmac_f16_e32 v15, v12, v18
	v_pack_b32_f16 v12, v16, v20
	s_delay_alu instid0(VALU_DEP_2)
	v_pack_b32_f16 v13, v19, v15
	ds_store_b32 v21, v12 offset:144
	ds_store_b32 v11, v13 offset:336
	ds_load_b32 v12, v21 offset:192
	ds_load_b32 v13, v11 offset:288
	s_wait_dscnt 0x1
	v_lshrrev_b32_e32 v15, 16, v12
	s_wait_dscnt 0x0
	v_lshrrev_b32_e32 v16, 16, v13
	v_add_f16_e32 v18, v12, v13
	v_sub_f16_e32 v12, v12, v13
	s_delay_alu instid0(VALU_DEP_3) | instskip(SKIP_1) | instid1(VALU_DEP_3)
	v_add_f16_e32 v13, v16, v15
	v_sub_f16_e32 v15, v15, v16
	v_fma_f16 v16, v12, v17, v18
	v_fma_f16 v18, -v12, v17, v18
	s_delay_alu instid0(VALU_DEP_3) | instskip(SKIP_1) | instid1(VALU_DEP_4)
	v_fma_f16 v19, v13, v17, v15
	v_fma_f16 v15, v13, v17, -v15
	v_fma_f16 v16, -v14, v13, v16
	s_delay_alu instid0(VALU_DEP_4) | instskip(NEXT) | instid1(VALU_DEP_4)
	v_fmac_f16_e32 v18, v14, v13
	v_fmac_f16_e32 v19, v12, v14
	s_delay_alu instid0(VALU_DEP_4) | instskip(NEXT) | instid1(VALU_DEP_2)
	v_fmac_f16_e32 v15, v12, v14
	v_pack_b32_f16 v12, v16, v19
	s_delay_alu instid0(VALU_DEP_2)
	v_pack_b32_f16 v13, v18, v15
	ds_store_b32 v21, v12 offset:192
	ds_store_b32 v11, v13 offset:288
	global_wb scope:SCOPE_SE
	s_wait_dscnt 0x0
	s_barrier_signal -1
	s_barrier_wait -1
	global_inv scope:SCOPE_SE
	global_wb scope:SCOPE_SE
	s_barrier_signal -1
	s_barrier_wait -1
	global_inv scope:SCOPE_SE
	ds_load_2addr_b32 v[13:14], v23 offset0:52 offset1:60
	ds_load_2addr_b32 v[11:12], v23 offset0:92 offset1:100
	;; [unrolled: 1-line block ×3, first 2 shown]
	ds_load_b32 v27, v21
	ds_load_2addr_b32 v[15:16], v23 offset0:12 offset1:20
	ds_load_2addr_b32 v[19:20], v23 offset0:72 offset1:80
	ds_load_b32 v26, v23 offset:448
	global_wb scope:SCOPE_SE
	s_wait_dscnt 0x0
	s_barrier_signal -1
	s_barrier_wait -1
	global_inv scope:SCOPE_SE
	v_pk_add_f16 v29, v14, v12
	v_pk_add_f16 v30, v27, v18
	;; [unrolled: 1-line block ×3, first 2 shown]
	v_pk_add_f16 v14, v14, v12 neg_lo:[0,1] neg_hi:[0,1]
	s_delay_alu instid0(VALU_DEP_4)
	v_pk_fma_f16 v16, v29, 0.5, v16 op_sel_hi:[1,0,1] neg_lo:[1,0,0] neg_hi:[1,0,0]
	v_pk_add_f16 v29, v18, v20
	v_pk_add_f16 v18, v18, v20 neg_lo:[0,1] neg_hi:[0,1]
	v_pk_add_f16 v20, v30, v20
	v_pk_add_f16 v12, v31, v12
	v_pk_fma_f16 v30, 0x3aee, v14, v16 op_sel:[0,0,1] op_sel_hi:[0,1,0] neg_lo:[0,1,0] neg_hi:[0,1,0]
	v_pk_fma_f16 v27, v29, 0.5, v27 op_sel_hi:[1,0,1] neg_lo:[1,0,0] neg_hi:[1,0,0]
	v_pk_fma_f16 v14, 0x3aee, v14, v16 op_sel:[0,0,1] op_sel_hi:[0,1,0]
	s_delay_alu instid0(VALU_DEP_4) | instskip(NEXT) | instid1(VALU_DEP_4)
	v_pk_add_f16 v16, v20, v12
	v_pk_mul_f16 v29, 0x3aee, v30 op_sel_hi:[0,1]
	s_delay_alu instid0(VALU_DEP_4)
	v_pk_fma_f16 v31, 0x3aee, v18, v27 op_sel:[0,0,1] op_sel_hi:[0,1,0] neg_lo:[0,1,0] neg_hi:[0,1,0]
	v_lshrrev_b32_e32 v32, 16, v30
	v_lshrrev_b32_e32 v33, 16, v14
	v_mul_f16_e32 v30, -0.5, v30
	v_pk_fma_f16 v34, 0xb8003800, v14, v29 op_sel:[0,0,1] op_sel_hi:[1,1,0]
	v_pk_fma_f16 v29, 0xb8003800, v14, v29 op_sel:[0,0,1] op_sel_hi:[1,1,0] neg_lo:[0,0,1] neg_hi:[0,0,1]
	v_mul_f16_e32 v14, 0x3aee, v14
	v_pk_fma_f16 v18, 0x3aee, v18, v27 op_sel:[0,0,1] op_sel_hi:[0,1,0]
	v_lshrrev_b32_e32 v27, 16, v31
	v_fmac_f16_e32 v30, 0x3aee, v33
	v_bfi_b32 v33, 0xffff, v34, v29
	v_fma_f16 v14, v32, 0.5, -v14
	v_alignbit_b32 v32, v18, v31, 16
	v_alignbit_b32 v35, v31, v18, 16
	v_add_f16_e32 v31, v31, v30
	v_pk_add_f16 v18, v18, v33
	v_add_f16_e32 v27, v27, v14
	v_pack_b32_f16 v14, v14, v34
	v_alignbit_b32 v29, v30, v29, 16
	v_pk_add_f16 v12, v20, v12 neg_lo:[0,1] neg_hi:[0,1]
	v_alignbit_b32 v20, v31, v18, 16
	v_pack_b32_f16 v18, v27, v18
	v_pk_add_f16 v14, v32, v14 neg_lo:[0,1] neg_hi:[0,1]
	v_pk_add_f16 v27, v35, v29 neg_lo:[0,1] neg_hi:[0,1]
	ds_store_2addr_b32 v28, v18, v20 offset0:1 offset1:2
	ds_store_2addr_b32 v28, v12, v14 offset0:3 offset1:4
	ds_store_2addr_b32 v28, v16, v27 offset1:5
	s_and_saveexec_b32 s1, s0
	s_cbranch_execz .LBB0_20
; %bb.19:
	v_pk_add_f16 v12, v19, v26
	v_pk_add_f16 v16, v19, v26 neg_lo:[0,1] neg_hi:[0,1]
	v_pk_add_f16 v18, v13, v11
	v_pk_add_f16 v14, v15, v13
	v_pk_add_f16 v13, v13, v11 neg_lo:[0,1] neg_hi:[0,1]
	v_pk_fma_f16 v12, v12, 0.5, v17 op_sel_hi:[1,0,1] neg_lo:[1,0,0] neg_hi:[1,0,0]
	v_pk_add_f16 v17, v17, v19
	v_pk_fma_f16 v15, v18, 0.5, v15 op_sel_hi:[1,0,1] neg_lo:[1,0,0] neg_hi:[1,0,0]
	v_lshl_add_u32 v19, v24, 2, v25
	v_pk_add_f16 v11, v14, v11
	v_pk_fma_f16 v20, 0x3aee, v16, v12 op_sel:[0,0,1] op_sel_hi:[0,1,0] neg_lo:[0,1,0] neg_hi:[0,1,0]
	v_pk_fma_f16 v12, 0x3aee, v16, v12 op_sel:[0,0,1] op_sel_hi:[0,1,0]
	v_pk_add_f16 v14, v17, v26
	v_pk_fma_f16 v17, 0x3aee, v13, v15 op_sel:[0,0,1] op_sel_hi:[0,1,0] neg_lo:[0,1,0] neg_hi:[0,1,0]
	v_pk_fma_f16 v13, 0x3aee, v13, v15 op_sel:[0,0,1] op_sel_hi:[0,1,0]
	v_pk_mul_f16 v16, 0x3aee, v20 op_sel_hi:[0,1]
	v_lshrrev_b32_e32 v18, 16, v12
	v_mul_f16_e32 v24, -0.5, v20
	v_lshrrev_b32_e32 v20, 16, v20
	v_lshrrev_b32_e32 v15, 16, v17
	v_pk_fma_f16 v26, 0xb8003800, v12, v16 op_sel:[0,0,1] op_sel_hi:[1,1,0]
	v_pk_fma_f16 v16, 0xb8003800, v12, v16 op_sel:[0,0,1] op_sel_hi:[1,1,0] neg_lo:[0,0,1] neg_hi:[0,0,1]
	v_mul_f16_e32 v12, 0x3aee, v12
	v_fmac_f16_e32 v24, 0x3aee, v18
	v_alignbit_b32 v27, v13, v17, 16
	s_delay_alu instid0(VALU_DEP_4) | instskip(NEXT) | instid1(VALU_DEP_4)
	v_bfi_b32 v18, 0xffff, v26, v16
	v_fma_f16 v12, v20, 0.5, -v12
	s_delay_alu instid0(VALU_DEP_4)
	v_add_f16_e32 v28, v17, v24
	v_alignbit_b32 v16, v24, v16, 16
	v_pk_add_f16 v20, v11, v14
	v_pk_add_f16 v18, v13, v18
	v_add_f16_e32 v15, v15, v12
	v_pack_b32_f16 v12, v12, v26
	v_alignbit_b32 v13, v17, v13, 16
	v_pk_add_f16 v11, v11, v14 neg_lo:[0,1] neg_hi:[0,1]
	v_alignbit_b32 v17, v28, v18, 16
	v_pack_b32_f16 v15, v15, v18
	v_pk_add_f16 v12, v27, v12 neg_lo:[0,1] neg_hi:[0,1]
	v_pk_add_f16 v13, v13, v16 neg_lo:[0,1] neg_hi:[0,1]
	ds_store_2addr_b32 v19, v15, v17 offset0:73 offset1:74
	ds_store_2addr_b32 v19, v11, v12 offset0:75 offset1:76
	;; [unrolled: 1-line block ×3, first 2 shown]
.LBB0_20:
	s_wait_alu 0xfffe
	s_or_b32 exec_lo, exec_lo, s1
	v_dual_mov_b32 v12, v6 :: v_dual_add_nc_u32 v11, -6, v5
	v_cmp_gt_u32_e64 s0, 6, v5
	global_wb scope:SCOPE_SE
	s_wait_dscnt 0x0
	s_barrier_signal -1
	s_barrier_wait -1
	global_inv scope:SCOPE_SE
	s_wait_alu 0xf1ff
	v_cndmask_b32_e64 v30, v11, v5, s0
	v_mul_i32_i24_e32 v6, 0xffffffec, v5
	s_delay_alu instid0(VALU_DEP_2) | instskip(NEXT) | instid1(VALU_DEP_2)
	v_mul_i32_i24_e32 v11, 9, v30
	v_add3_u32 v6, v25, v6, v22
	v_lshlrev_b32_e32 v30, 2, v30
	s_delay_alu instid0(VALU_DEP_3) | instskip(NEXT) | instid1(VALU_DEP_1)
	v_lshlrev_b64_e32 v[11:12], 2, v[11:12]
	v_add_co_u32 v19, s0, s8, v11
	s_wait_alu 0xf1ff
	s_delay_alu instid0(VALU_DEP_2)
	v_add_co_ci_u32_e64 v20, s0, s9, v12, s0
	v_cmp_lt_u32_e64 s0, 5, v5
	s_clause 0x2
	global_load_b128 v[11:14], v[19:20], off
	global_load_b128 v[15:18], v[19:20], off offset:16
	global_load_b32 v31, v[19:20], off offset:32
	ds_load_b32 v32, v21
	ds_load_2addr_b32 v[19:20], v23 offset0:60 offset1:72
	ds_load_2addr_b32 v[24:25], v6 offset0:12 offset1:24
	;; [unrolled: 1-line block ×3, first 2 shown]
	ds_load_b32 v34, v6 offset:432
	ds_load_2addr_b32 v[28:29], v6 offset0:36 offset1:48
	s_wait_alu 0xf1ff
	v_cndmask_b32_e64 v33, 0, 0xf0, s0
	v_add_co_u32 v7, s0, s8, v7
	s_wait_alu 0xf1ff
	v_add_co_ci_u32_e64 v8, s0, s9, v8, s0
	s_delay_alu instid0(VALU_DEP_3) | instskip(SKIP_3) | instid1(VALU_DEP_3)
	v_add_nc_u32_e32 v33, 0, v33
	v_add_co_u32 v9, s0, s8, v9
	s_wait_alu 0xf1ff
	v_add_co_ci_u32_e64 v10, s0, s9, v10, s0
	v_add3_u32 v22, v33, v30, v22
	global_wb scope:SCOPE_SE
	s_wait_loadcnt_dscnt 0x0
	s_barrier_signal -1
	s_barrier_wait -1
	global_inv scope:SCOPE_SE
	v_lshrrev_b32_e32 v39, 16, v24
	v_lshrrev_b32_e32 v33, 16, v20
	;; [unrolled: 1-line block ×19, first 2 shown]
	v_mul_f16_e32 v52, v43, v39
	v_mul_f16_e32 v43, v43, v24
	;; [unrolled: 1-line block ×18, first 2 shown]
	v_fmac_f16_e32 v52, v11, v24
	v_fma_f16 v11, v11, v39, -v43
	v_fmac_f16_e32 v53, v12, v25
	v_fma_f16 v12, v12, v40, -v44
	;; [unrolled: 2-line block ×8, first 2 shown]
	v_fma_f16 v19, v38, v31, -v51
	v_fmac_f16_e32 v60, v34, v31
	v_add_f16_e32 v20, v32, v53
	v_sub_f16_e32 v27, v53, v55
	v_sub_f16_e32 v28, v59, v57
	v_add_f16_e32 v29, v53, v59
	v_sub_f16_e32 v31, v55, v53
	v_sub_f16_e32 v33, v57, v59
	;; [unrolled: 1-line block ×5, first 2 shown]
	v_add_f16_e32 v51, v11, v13
	v_add_f16_e32 v53, v15, v17
	;; [unrolled: 1-line block ×6, first 2 shown]
	v_sub_f16_e32 v44, v13, v19
	v_sub_f16_e32 v45, v15, v17
	;; [unrolled: 1-line block ×3, first 2 shown]
	v_add_f16_e32 v48, v54, v60
	v_sub_f16_e32 v49, v56, v54
	v_sub_f16_e32 v54, v54, v60
	;; [unrolled: 1-line block ×4, first 2 shown]
	v_add_f16_e32 v27, v27, v28
	v_add_f16_e32 v28, v31, v33
	;; [unrolled: 1-line block ×4, first 2 shown]
	v_fma_f16 v39, -0.5, v53, v11
	v_add_f16_e32 v24, v55, v57
	v_add_f16_e32 v35, v14, v16
	;; [unrolled: 1-line block ×3, first 2 shown]
	v_sub_f16_e32 v61, v56, v58
	v_fmac_f16_e32 v11, -0.5, v64
	v_sub_f16_e32 v25, v12, v18
	v_sub_f16_e32 v26, v14, v16
	v_sub_f16_e32 v12, v14, v12
	v_sub_f16_e32 v47, v60, v58
	v_sub_f16_e32 v63, v19, v17
	v_sub_f16_e32 v65, v17, v19
	v_add_f16_e32 v14, v34, v14
	v_fma_f16 v34, -0.5, v43, v52
	v_add_f16_e32 v15, v15, v17
	v_fmamk_f16 v17, v54, 0x3b9c, v39
	v_sub_f16_e32 v37, v55, v57
	v_add_f16_e32 v20, v20, v55
	v_fma_f16 v24, -0.5, v24, v32
	v_fmac_f16_e32 v32, -0.5, v29
	v_fma_f16 v29, -0.5, v35, v30
	v_fmac_f16_e32 v30, -0.5, v40
	v_add_f16_e32 v33, v42, v56
	v_fmac_f16_e32 v52, -0.5, v48
	v_fmamk_f16 v48, v61, 0xbb9c, v11
	v_fmac_f16_e32 v11, 0x3b9c, v61
	v_sub_f16_e32 v41, v16, v18
	v_fmac_f16_e32 v39, 0xbb9c, v54
	v_add_f16_e32 v35, v46, v47
	v_add_f16_e32 v40, v62, v63
	;; [unrolled: 1-line block ×3, first 2 shown]
	v_fmamk_f16 v46, v44, 0xbb9c, v34
	v_fmac_f16_e32 v17, 0x38b4, v61
	v_sub_f16_e32 v50, v58, v60
	v_add_f16_e32 v13, v13, v65
	v_add_f16_e32 v20, v20, v57
	v_fmamk_f16 v43, v37, 0xbb9c, v30
	v_fmac_f16_e32 v30, 0x3b9c, v37
	v_add_f16_e32 v33, v33, v58
	v_fmamk_f16 v47, v45, 0x3b9c, v52
	v_fmac_f16_e32 v52, 0xbb9c, v45
	v_fmac_f16_e32 v48, 0x38b4, v54
	;; [unrolled: 1-line block ×3, first 2 shown]
	v_add_f16_e32 v12, v12, v41
	v_fmamk_f16 v41, v25, 0xbb9c, v24
	v_fmac_f16_e32 v24, 0x3b9c, v25
	v_fmac_f16_e32 v34, 0x3b9c, v44
	;; [unrolled: 1-line block ×3, first 2 shown]
	v_fmamk_f16 v16, v36, 0x3b9c, v29
	v_add_f16_e32 v14, v14, v18
	v_fmac_f16_e32 v46, 0xb8b4, v45
	v_add_f16_e32 v15, v15, v19
	v_fmac_f16_e32 v17, 0x34f2, v40
	v_add_f16_e32 v38, v49, v50
	v_fmamk_f16 v42, v26, 0x3b9c, v32
	v_fmac_f16_e32 v32, 0xbb9c, v26
	v_add_f16_e32 v20, v20, v59
	v_fmac_f16_e32 v43, 0x38b4, v36
	v_fmac_f16_e32 v30, 0xb8b4, v36
	v_add_f16_e32 v18, v33, v60
	v_fmac_f16_e32 v47, 0xb8b4, v44
	v_fmac_f16_e32 v52, 0x38b4, v44
	;; [unrolled: 1-line block ×11, first 2 shown]
	v_add_f16_e32 v13, v14, v15
	v_sub_f16_e32 v14, v14, v15
	v_mul_f16_e32 v15, 0xb8b4, v17
	v_mul_f16_e32 v17, 0x3a79, v17
	v_fmac_f16_e32 v42, 0xb8b4, v25
	v_fmac_f16_e32 v32, 0x38b4, v25
	;; [unrolled: 1-line block ×6, first 2 shown]
	v_add_f16_e32 v12, v20, v18
	v_sub_f16_e32 v18, v20, v18
	v_mul_f16_e32 v19, 0xbb9c, v48
	v_mul_f16_e32 v20, 0xbb9c, v11
	v_mul_f16_e32 v26, 0x34f2, v48
	v_mul_f16_e32 v11, 0xb4f2, v11
	v_fmac_f16_e32 v29, 0xb8b4, v37
	v_fmac_f16_e32 v41, 0x34f2, v27
	;; [unrolled: 1-line block ×4, first 2 shown]
	v_mul_f16_e32 v25, 0xb8b4, v39
	v_mul_f16_e32 v27, 0xba79, v39
	v_fmac_f16_e32 v16, 0x34f2, v31
	v_fmac_f16_e32 v15, 0x3a79, v46
	;; [unrolled: 1-line block ×12, first 2 shown]
	v_pack_b32_f16 v12, v12, v13
	v_pack_b32_f16 v13, v18, v14
	v_add_f16_e32 v14, v41, v15
	v_add_f16_e32 v33, v16, v17
	;; [unrolled: 1-line block ×8, first 2 shown]
	v_sub_f16_e32 v15, v41, v15
	v_sub_f16_e32 v19, v42, v19
	;; [unrolled: 1-line block ×8, first 2 shown]
	v_pack_b32_f16 v14, v14, v33
	v_pack_b32_f16 v18, v18, v34
	;; [unrolled: 1-line block ×8, first 2 shown]
	ds_store_2addr_b32 v22, v12, v14 offset1:6
	ds_store_2addr_b32 v22, v18, v26 offset0:12 offset1:18
	ds_store_2addr_b32 v22, v27, v13 offset0:24 offset1:30
	;; [unrolled: 1-line block ×4, first 2 shown]
	global_wb scope:SCOPE_SE
	s_wait_dscnt 0x0
	s_barrier_signal -1
	s_barrier_wait -1
	global_inv scope:SCOPE_SE
	s_clause 0x4
	global_load_b32 v15, v[7:8], off offset:216
	global_load_b32 v16, v[9:10], off offset:264
	;; [unrolled: 1-line block ×5, first 2 shown]
	ds_load_2addr_b32 v[7:8], v23 offset0:60 offset1:72
	ds_load_2addr_b32 v[9:10], v6 offset0:84 offset1:96
	ds_load_b32 v20, v6 offset:432
	ds_load_b32 v21, v21
	ds_load_2addr_b32 v[11:12], v6 offset0:12 offset1:24
	ds_load_2addr_b32 v[13:14], v6 offset0:36 offset1:48
	global_wb scope:SCOPE_SE
	s_wait_loadcnt_dscnt 0x0
	s_barrier_signal -1
	s_barrier_wait -1
	global_inv scope:SCOPE_SE
	v_pk_mul_f16 v22, v15, v7 op_sel:[0,1]
	v_pk_mul_f16 v24, v16, v8 op_sel:[0,1]
	;; [unrolled: 1-line block ×5, first 2 shown]
	v_pk_fma_f16 v28, v15, v7, v22 op_sel:[0,0,1] op_sel_hi:[1,1,0]
	v_pk_fma_f16 v7, v15, v7, v22 op_sel:[0,0,1] op_sel_hi:[1,0,0] neg_lo:[1,0,0] neg_hi:[1,0,0]
	v_pk_fma_f16 v15, v16, v8, v24 op_sel:[0,0,1] op_sel_hi:[1,1,0]
	v_pk_fma_f16 v8, v16, v8, v24 op_sel:[0,0,1] op_sel_hi:[1,0,0] neg_lo:[1,0,0] neg_hi:[1,0,0]
	;; [unrolled: 2-line block ×5, first 2 shown]
	v_bfi_b32 v7, 0xffff, v28, v7
	v_bfi_b32 v8, 0xffff, v15, v8
	;; [unrolled: 1-line block ×5, first 2 shown]
	v_pk_add_f16 v7, v21, v7 neg_lo:[0,1] neg_hi:[0,1]
	v_pk_add_f16 v8, v11, v8 neg_lo:[0,1] neg_hi:[0,1]
	;; [unrolled: 1-line block ×5, first 2 shown]
	v_pk_fma_f16 v16, v21, 2.0, v7 op_sel_hi:[1,0,1] neg_lo:[0,0,1] neg_hi:[0,0,1]
	v_pk_fma_f16 v11, v11, 2.0, v8 op_sel_hi:[1,0,1] neg_lo:[0,0,1] neg_hi:[0,0,1]
	;; [unrolled: 1-line block ×5, first 2 shown]
	ds_store_2addr_b32 v23, v16, v7 offset1:60
	ds_store_2addr_b32 v6, v11, v12 offset0:12 offset1:24
	ds_store_2addr_b32 v6, v8, v9 offset0:72 offset1:84
	;; [unrolled: 1-line block ×4, first 2 shown]
	global_wb scope:SCOPE_SE
	s_wait_dscnt 0x0
	s_barrier_signal -1
	s_barrier_wait -1
	global_inv scope:SCOPE_SE
	s_and_saveexec_b32 s0, vcc_lo
	s_cbranch_execz .LBB0_22
; %bb.21:
	v_mul_lo_u32 v7, s3, v3
	v_mul_lo_u32 v8, s2, v4
	v_mad_co_u64_u32 v[3:4], null, s2, v3, 0
	v_mov_b32_e32 v6, 0
	v_lshl_add_u32 v30, v5, 2, v0
	v_lshlrev_b64_e32 v[0:1], 2, v[1:2]
	v_add_nc_u32_e32 v28, 0x60, v5
	v_add3_u32 v4, v4, v8, v7
	v_add_nc_u32_e32 v7, 24, v5
	v_add_nc_u32_e32 v2, 12, v5
	v_lshlrev_b64_e32 v[12:13], 2, v[5:6]
	v_dual_mov_b32 v8, v6 :: v_dual_add_nc_u32 v9, 36, v5
	v_lshlrev_b64_e32 v[10:11], 2, v[3:4]
	v_dual_mov_b32 v3, v6 :: v_dual_add_nc_u32 v16, 48, v5
	v_mov_b32_e32 v21, v6
	s_delay_alu instid0(VALU_DEP_4)
	v_lshlrev_b64_e32 v[7:8], 2, v[7:8]
	v_mov_b32_e32 v17, v6
	v_add_co_u32 v4, vcc_lo, s6, v10
	s_wait_alu 0xfffd
	v_add_co_ci_u32_e32 v11, vcc_lo, s7, v11, vcc_lo
	v_mov_b32_e32 v10, v6
	s_delay_alu instid0(VALU_DEP_3) | instskip(SKIP_1) | instid1(VALU_DEP_3)
	v_add_co_u32 v32, vcc_lo, v4, v0
	s_wait_alu 0xfffd
	v_add_co_ci_u32_e32 v33, vcc_lo, v11, v1, vcc_lo
	v_lshlrev_b64_e32 v[0:1], 2, v[2:3]
	s_delay_alu instid0(VALU_DEP_3) | instskip(SKIP_1) | instid1(VALU_DEP_3)
	v_add_co_u32 v2, vcc_lo, v32, v12
	s_wait_alu 0xfffd
	v_add_co_ci_u32_e32 v3, vcc_lo, v33, v13, vcc_lo
	v_lshlrev_b64_e32 v[9:10], 2, v[9:10]
	s_delay_alu instid0(VALU_DEP_4)
	v_add_co_u32 v0, vcc_lo, v32, v0
	v_dual_mov_b32 v23, v6 :: v_dual_add_nc_u32 v20, 60, v5
	s_wait_alu 0xfffd
	v_add_co_ci_u32_e32 v1, vcc_lo, v33, v1, vcc_lo
	v_add_co_u32 v7, vcc_lo, v32, v7
	v_lshlrev_b64_e32 v[16:17], 2, v[16:17]
	v_dual_mov_b32 v25, v6 :: v_dual_add_nc_u32 v22, 0x48, v5
	s_wait_alu 0xfffd
	v_add_co_ci_u32_e32 v8, vcc_lo, v33, v8, vcc_lo
	ds_load_2addr_b32 v[14:15], v30 offset1:12
	v_add_co_u32 v9, vcc_lo, v32, v9
	v_lshlrev_b64_e32 v[20:21], 2, v[20:21]
	v_dual_mov_b32 v29, v6 :: v_dual_add_nc_u32 v24, 0x54, v5
	ds_load_2addr_b32 v[11:12], v30 offset0:24 offset1:36
	s_wait_alu 0xfffd
	v_add_co_ci_u32_e32 v10, vcc_lo, v33, v10, vcc_lo
	v_add_co_u32 v16, vcc_lo, v32, v16
	v_lshlrev_b64_e32 v[22:23], 2, v[22:23]
	ds_load_2addr_b32 v[18:19], v30 offset0:48 offset1:60
	s_wait_alu 0xfffd
	v_add_co_ci_u32_e32 v17, vcc_lo, v33, v17, vcc_lo
	v_add_co_u32 v20, vcc_lo, v32, v20
	ds_load_2addr_b32 v[26:27], v30 offset0:72 offset1:84
	v_lshlrev_b64_e32 v[24:25], 2, v[24:25]
	v_add_nc_u32_e32 v5, 0x6c, v5
	s_wait_alu 0xfffd
	v_add_co_ci_u32_e32 v21, vcc_lo, v33, v21, vcc_lo
	ds_load_2addr_b32 v[30:31], v30 offset0:96 offset1:108
	v_add_co_u32 v22, vcc_lo, v32, v22
	v_lshlrev_b64_e32 v[28:29], 2, v[28:29]
	s_wait_alu 0xfffd
	v_add_co_ci_u32_e32 v23, vcc_lo, v33, v23, vcc_lo
	v_add_co_u32 v24, vcc_lo, v32, v24
	v_lshlrev_b64_e32 v[4:5], 2, v[5:6]
	s_wait_alu 0xfffd
	v_add_co_ci_u32_e32 v25, vcc_lo, v33, v25, vcc_lo
	v_add_co_u32 v28, vcc_lo, v32, v28
	s_wait_alu 0xfffd
	v_add_co_ci_u32_e32 v29, vcc_lo, v33, v29, vcc_lo
	v_add_co_u32 v4, vcc_lo, v32, v4
	s_wait_alu 0xfffd
	v_add_co_ci_u32_e32 v5, vcc_lo, v33, v5, vcc_lo
	s_wait_dscnt 0x4
	s_clause 0x1
	global_store_b32 v[2:3], v14, off
	global_store_b32 v[0:1], v15, off
	s_wait_dscnt 0x3
	s_clause 0x1
	global_store_b32 v[7:8], v11, off
	global_store_b32 v[9:10], v12, off
	;; [unrolled: 4-line block ×5, first 2 shown]
.LBB0_22:
	s_nop 0
	s_sendmsg sendmsg(MSG_DEALLOC_VGPRS)
	s_endpgm
	.section	.rodata,"a",@progbits
	.p2align	6, 0x0
	.amdhsa_kernel fft_rtc_back_len120_factors_6_10_2_wgs_60_tpt_12_halfLds_half_op_CI_CI_unitstride_sbrr_C2R_dirReg
		.amdhsa_group_segment_fixed_size 0
		.amdhsa_private_segment_fixed_size 0
		.amdhsa_kernarg_size 104
		.amdhsa_user_sgpr_count 2
		.amdhsa_user_sgpr_dispatch_ptr 0
		.amdhsa_user_sgpr_queue_ptr 0
		.amdhsa_user_sgpr_kernarg_segment_ptr 1
		.amdhsa_user_sgpr_dispatch_id 0
		.amdhsa_user_sgpr_private_segment_size 0
		.amdhsa_wavefront_size32 1
		.amdhsa_uses_dynamic_stack 0
		.amdhsa_enable_private_segment 0
		.amdhsa_system_sgpr_workgroup_id_x 1
		.amdhsa_system_sgpr_workgroup_id_y 0
		.amdhsa_system_sgpr_workgroup_id_z 0
		.amdhsa_system_sgpr_workgroup_info 0
		.amdhsa_system_vgpr_workitem_id 0
		.amdhsa_next_free_vgpr 66
		.amdhsa_next_free_sgpr 39
		.amdhsa_reserve_vcc 1
		.amdhsa_float_round_mode_32 0
		.amdhsa_float_round_mode_16_64 0
		.amdhsa_float_denorm_mode_32 3
		.amdhsa_float_denorm_mode_16_64 3
		.amdhsa_fp16_overflow 0
		.amdhsa_workgroup_processor_mode 1
		.amdhsa_memory_ordered 1
		.amdhsa_forward_progress 0
		.amdhsa_round_robin_scheduling 0
		.amdhsa_exception_fp_ieee_invalid_op 0
		.amdhsa_exception_fp_denorm_src 0
		.amdhsa_exception_fp_ieee_div_zero 0
		.amdhsa_exception_fp_ieee_overflow 0
		.amdhsa_exception_fp_ieee_underflow 0
		.amdhsa_exception_fp_ieee_inexact 0
		.amdhsa_exception_int_div_zero 0
	.end_amdhsa_kernel
	.text
.Lfunc_end0:
	.size	fft_rtc_back_len120_factors_6_10_2_wgs_60_tpt_12_halfLds_half_op_CI_CI_unitstride_sbrr_C2R_dirReg, .Lfunc_end0-fft_rtc_back_len120_factors_6_10_2_wgs_60_tpt_12_halfLds_half_op_CI_CI_unitstride_sbrr_C2R_dirReg
                                        ; -- End function
	.section	.AMDGPU.csdata,"",@progbits
; Kernel info:
; codeLenInByte = 6504
; NumSgprs: 41
; NumVgprs: 66
; ScratchSize: 0
; MemoryBound: 0
; FloatMode: 240
; IeeeMode: 1
; LDSByteSize: 0 bytes/workgroup (compile time only)
; SGPRBlocks: 5
; VGPRBlocks: 8
; NumSGPRsForWavesPerEU: 41
; NumVGPRsForWavesPerEU: 66
; Occupancy: 16
; WaveLimiterHint : 1
; COMPUTE_PGM_RSRC2:SCRATCH_EN: 0
; COMPUTE_PGM_RSRC2:USER_SGPR: 2
; COMPUTE_PGM_RSRC2:TRAP_HANDLER: 0
; COMPUTE_PGM_RSRC2:TGID_X_EN: 1
; COMPUTE_PGM_RSRC2:TGID_Y_EN: 0
; COMPUTE_PGM_RSRC2:TGID_Z_EN: 0
; COMPUTE_PGM_RSRC2:TIDIG_COMP_CNT: 0
	.text
	.p2alignl 7, 3214868480
	.fill 96, 4, 3214868480
	.type	__hip_cuid_4d38da72a3db3ad,@object ; @__hip_cuid_4d38da72a3db3ad
	.section	.bss,"aw",@nobits
	.globl	__hip_cuid_4d38da72a3db3ad
__hip_cuid_4d38da72a3db3ad:
	.byte	0                               ; 0x0
	.size	__hip_cuid_4d38da72a3db3ad, 1

	.ident	"AMD clang version 19.0.0git (https://github.com/RadeonOpenCompute/llvm-project roc-6.4.0 25133 c7fe45cf4b819c5991fe208aaa96edf142730f1d)"
	.section	".note.GNU-stack","",@progbits
	.addrsig
	.addrsig_sym __hip_cuid_4d38da72a3db3ad
	.amdgpu_metadata
---
amdhsa.kernels:
  - .args:
      - .actual_access:  read_only
        .address_space:  global
        .offset:         0
        .size:           8
        .value_kind:     global_buffer
      - .offset:         8
        .size:           8
        .value_kind:     by_value
      - .actual_access:  read_only
        .address_space:  global
        .offset:         16
        .size:           8
        .value_kind:     global_buffer
      - .actual_access:  read_only
        .address_space:  global
        .offset:         24
        .size:           8
        .value_kind:     global_buffer
      - .actual_access:  read_only
        .address_space:  global
        .offset:         32
        .size:           8
        .value_kind:     global_buffer
      - .offset:         40
        .size:           8
        .value_kind:     by_value
      - .actual_access:  read_only
        .address_space:  global
        .offset:         48
        .size:           8
        .value_kind:     global_buffer
      - .actual_access:  read_only
        .address_space:  global
        .offset:         56
        .size:           8
        .value_kind:     global_buffer
      - .offset:         64
        .size:           4
        .value_kind:     by_value
      - .actual_access:  read_only
        .address_space:  global
        .offset:         72
        .size:           8
        .value_kind:     global_buffer
      - .actual_access:  read_only
        .address_space:  global
        .offset:         80
        .size:           8
        .value_kind:     global_buffer
      - .actual_access:  read_only
        .address_space:  global
        .offset:         88
        .size:           8
        .value_kind:     global_buffer
      - .actual_access:  write_only
        .address_space:  global
        .offset:         96
        .size:           8
        .value_kind:     global_buffer
    .group_segment_fixed_size: 0
    .kernarg_segment_align: 8
    .kernarg_segment_size: 104
    .language:       OpenCL C
    .language_version:
      - 2
      - 0
    .max_flat_workgroup_size: 60
    .name:           fft_rtc_back_len120_factors_6_10_2_wgs_60_tpt_12_halfLds_half_op_CI_CI_unitstride_sbrr_C2R_dirReg
    .private_segment_fixed_size: 0
    .sgpr_count:     41
    .sgpr_spill_count: 0
    .symbol:         fft_rtc_back_len120_factors_6_10_2_wgs_60_tpt_12_halfLds_half_op_CI_CI_unitstride_sbrr_C2R_dirReg.kd
    .uniform_work_group_size: 1
    .uses_dynamic_stack: false
    .vgpr_count:     66
    .vgpr_spill_count: 0
    .wavefront_size: 32
    .workgroup_processor_mode: 1
amdhsa.target:   amdgcn-amd-amdhsa--gfx1201
amdhsa.version:
  - 1
  - 2
...

	.end_amdgpu_metadata
